;; amdgpu-corpus repo=ROCm/rocFFT kind=compiled arch=gfx1030 opt=O3
	.text
	.amdgcn_target "amdgcn-amd-amdhsa--gfx1030"
	.amdhsa_code_object_version 6
	.protected	fft_rtc_back_len55_factors_5_11_wgs_55_tpt_11_dim1_dp_ip_CI_sbrr_dirReg ; -- Begin function fft_rtc_back_len55_factors_5_11_wgs_55_tpt_11_dim1_dp_ip_CI_sbrr_dirReg
	.globl	fft_rtc_back_len55_factors_5_11_wgs_55_tpt_11_dim1_dp_ip_CI_sbrr_dirReg
	.p2align	8
	.type	fft_rtc_back_len55_factors_5_11_wgs_55_tpt_11_dim1_dp_ip_CI_sbrr_dirReg,@function
fft_rtc_back_len55_factors_5_11_wgs_55_tpt_11_dim1_dp_ip_CI_sbrr_dirReg: ; @fft_rtc_back_len55_factors_5_11_wgs_55_tpt_11_dim1_dp_ip_CI_sbrr_dirReg
; %bb.0:
	s_clause 0x1
	s_load_dwordx4 s[12:15], s[4:5], 0x10
	s_load_dwordx2 s[2:3], s[4:5], 0x48
	v_mul_u32_u24_e32 v1, 0x1746, v0
                                        ; implicit-def: $vgpr6_vgpr7
                                        ; implicit-def: $vgpr10_vgpr11
                                        ; implicit-def: $vgpr14_vgpr15
                                        ; implicit-def: $vgpr18_vgpr19
	v_lshrrev_b32_e32 v1, 16, v1
	v_mad_u64_u32 v[20:21], null, s6, 5, v[1:2]
	v_mul_lo_u16 v1, v1, 11
	v_mov_b32_e32 v21, 0
	v_sub_nc_u16 v0, v0, v1
	s_waitcnt lgkmcnt(0)
	s_load_dwordx4 s[8:11], s[12:13], 0x0
	v_cmp_gt_u64_e32 vcc_lo, s[14:15], v[20:21]
	v_and_b32_e32 v88, 0xffff, v0
	s_waitcnt lgkmcnt(0)
	v_mad_u64_u32 v[2:3], null, s10, v20, 0
	v_mad_u64_u32 v[3:4], null, s11, v20, v[3:4]
	v_lshlrev_b64 v[84:85], 4, v[2:3]
                                        ; implicit-def: $vgpr2_vgpr3
	s_and_saveexec_b32 s1, vcc_lo
	s_cbranch_execz .LBB0_2
; %bb.1:
	v_add_nc_u32_e32 v9, 11, v88
	v_add_nc_u32_e32 v11, 22, v88
	v_mad_u64_u32 v[0:1], null, s8, v88, 0
	v_add_nc_u32_e32 v13, 33, v88
	v_mad_u64_u32 v[2:3], null, s8, v9, 0
	v_mad_u64_u32 v[4:5], null, s8, v11, 0
	v_add_nc_u32_e32 v14, 44, v88
	v_add_co_u32 v15, s0, s2, v84
	v_add_co_ci_u32_e64 v16, s0, s3, v85, s0
	v_mad_u64_u32 v[6:7], null, s9, v88, v[1:2]
	v_mov_b32_e32 v1, v3
	v_mov_b32_e32 v3, v5
	v_mad_u64_u32 v[7:8], null, s8, v13, 0
	v_mad_u64_u32 v[9:10], null, s9, v9, v[1:2]
	;; [unrolled: 1-line block ×4, first 2 shown]
	v_mov_b32_e32 v1, v6
	v_mov_b32_e32 v6, v8
	;; [unrolled: 1-line block ×4, first 2 shown]
	v_lshlrev_b64 v[0:1], 4, v[0:1]
	v_mad_u64_u32 v[8:9], null, s9, v13, v[6:7]
	v_mov_b32_e32 v6, v12
	v_lshlrev_b64 v[2:3], 4, v[2:3]
	v_lshlrev_b64 v[4:5], 4, v[4:5]
	v_add_co_u32 v0, s0, v15, v0
	v_mad_u64_u32 v[9:10], null, s9, v14, v[6:7]
	v_add_co_ci_u32_e64 v1, s0, v16, v1, s0
	v_add_co_u32 v2, s0, v15, v2
	v_lshlrev_b64 v[6:7], 4, v[7:8]
	v_add_co_ci_u32_e64 v3, s0, v16, v3, s0
	v_mov_b32_e32 v12, v9
	v_add_co_u32 v4, s0, v15, v4
	v_add_co_ci_u32_e64 v5, s0, v16, v5, s0
	v_lshlrev_b64 v[8:9], 4, v[11:12]
	v_add_co_u32 v6, s0, v15, v6
	v_add_co_ci_u32_e64 v7, s0, v16, v7, s0
	v_add_co_u32 v21, s0, v15, v8
	v_add_co_ci_u32_e64 v22, s0, v16, v9, s0
	s_clause 0x4
	global_load_dwordx4 v[16:19], v[0:1], off
	global_load_dwordx4 v[12:15], v[2:3], off
	global_load_dwordx4 v[8:11], v[4:5], off
	global_load_dwordx4 v[4:7], v[6:7], off
	global_load_dwordx4 v[0:3], v[21:22], off
.LBB0_2:
	s_or_b32 exec_lo, exec_lo, s1
	s_waitcnt vmcnt(1)
	v_add_f64 v[21:22], v[4:5], v[8:9]
	s_waitcnt vmcnt(0)
	v_add_f64 v[23:24], v[0:1], v[12:13]
	v_add_f64 v[25:26], v[6:7], v[10:11]
	v_add_f64 v[27:28], v[2:3], v[14:15]
	v_add_f64 v[29:30], v[12:13], v[16:17]
	v_add_f64 v[31:32], v[14:15], -v[2:3]
	v_add_f64 v[33:34], v[10:11], -v[6:7]
	v_add_f64 v[35:36], v[14:15], v[18:19]
	v_add_f64 v[37:38], v[12:13], -v[0:1]
	s_mov_b32 s0, 0x134454ff
	s_mov_b32 s1, 0xbfee6f0e
	;; [unrolled: 1-line block ×4, first 2 shown]
	v_add_f64 v[39:40], v[0:1], -v[4:5]
	v_add_f64 v[41:42], v[4:5], -v[0:1]
	;; [unrolled: 1-line block ×6, first 2 shown]
	v_mul_hi_u32 v53, 0xcccccccd, v20
	v_fma_f64 v[21:22], v[21:22], -0.5, v[16:17]
	v_fma_f64 v[16:17], v[23:24], -0.5, v[16:17]
	v_add_f64 v[23:24], v[8:9], -v[4:5]
	v_fma_f64 v[25:26], v[25:26], -0.5, v[18:19]
	v_fma_f64 v[18:19], v[27:28], -0.5, v[18:19]
	v_add_f64 v[27:28], v[12:13], -v[8:9]
	v_add_f64 v[12:13], v[8:9], -v[12:13]
	v_add_f64 v[8:9], v[8:9], v[29:30]
	v_add_f64 v[10:11], v[10:11], v[35:36]
	;; [unrolled: 1-line block ×3, first 2 shown]
	v_fma_f64 v[29:30], v[31:32], s[0:1], v[21:22]
	v_fma_f64 v[21:22], v[31:32], s[6:7], v[21:22]
	;; [unrolled: 1-line block ×8, first 2 shown]
	s_mov_b32 s0, 0x4755a5e
	s_mov_b32 s1, 0xbfe2cf23
	;; [unrolled: 1-line block ×4, first 2 shown]
	v_add_f64 v[27:28], v[39:40], v[27:28]
	v_add_f64 v[12:13], v[41:42], v[12:13]
	;; [unrolled: 1-line block ×5, first 2 shown]
                                        ; implicit-def: $vgpr42_vgpr43
	v_fma_f64 v[8:9], v[33:34], s[0:1], v[29:30]
	v_fma_f64 v[10:11], v[33:34], s[6:7], v[21:22]
	;; [unrolled: 1-line block ×8, first 2 shown]
	v_lshrrev_b32_e32 v16, 2, v53
	s_mov_b32 s0, 0x372fe950
	s_mov_b32 s1, 0x3fd3c6ef
	v_lshl_add_u32 v25, v16, 2, v16
	v_add_f64 v[0:1], v[0:1], v[4:5]
	v_add_f64 v[2:3], v[2:3], v[6:7]
	v_fma_f64 v[8:9], v[27:28], s[0:1], v[8:9]
	v_fma_f64 v[16:17], v[27:28], s[0:1], v[10:11]
	;; [unrolled: 1-line block ×8, first 2 shown]
	v_sub_nc_u32_e32 v21, v20, v25
	v_mad_u32_u24 v20, 0x50, v88, 0
	v_cmp_gt_u16_e64 s0, 5, v88
                                        ; implicit-def: $vgpr34_vgpr35
                                        ; implicit-def: $vgpr38_vgpr39
                                        ; implicit-def: $vgpr30_vgpr31
                                        ; implicit-def: $vgpr26_vgpr27
	v_mul_u32_u24_e32 v21, 55, v21
	v_lshl_add_u32 v22, v21, 4, v20
	ds_write_b128 v22, v[0:3]
	ds_write_b128 v22, v[8:11] offset:16
	ds_write_b128 v22, v[4:7] offset:32
	;; [unrolled: 1-line block ×4, first 2 shown]
	s_waitcnt lgkmcnt(0)
	s_barrier
	buffer_gl0_inv
                                        ; implicit-def: $vgpr22_vgpr23
	s_and_saveexec_b32 s1, s0
	s_cbranch_execnz .LBB0_5
; %bb.3:
	s_or_b32 exec_lo, exec_lo, s1
	s_and_b32 s0, vcc_lo, s0
	s_and_saveexec_b32 s1, s0
	s_cbranch_execnz .LBB0_6
.LBB0_4:
	s_endpgm
.LBB0_5:
	v_lshlrev_b32_e32 v0, 6, v88
	v_lshlrev_b32_e32 v1, 4, v21
	;; [unrolled: 1-line block ×3, first 2 shown]
	v_sub_nc_u32_e32 v0, v20, v0
	v_add3_u32 v2, 0, v1, v2
	v_add_nc_u32_e32 v40, v0, v1
	ds_read_b128 v[0:3], v2
	ds_read_b128 v[8:11], v40 offset:80
	ds_read_b128 v[4:7], v40 offset:160
	;; [unrolled: 1-line block ×10, first 2 shown]
	s_or_b32 exec_lo, exec_lo, s1
	s_and_b32 s0, vcc_lo, s0
	s_and_saveexec_b32 s1, s0
	s_cbranch_execz .LBB0_4
.LBB0_6:
	v_and_b32_e32 v44, 0xff, v88
	s_load_dwordx2 s[0:1], s[4:5], 0x0
	v_mad_u64_u32 v[86:87], null, s8, v88, 0
	v_add_nc_u32_e32 v110, 5, v88
	v_mul_lo_u16 v44, 0xcd, v44
	v_add_nc_u32_e32 v111, 10, v88
	v_add_nc_u32_e32 v112, 15, v88
	;; [unrolled: 1-line block ×4, first 2 shown]
	v_lshrrev_b16 v44, 10, v44
	v_add_nc_u32_e32 v115, 30, v88
	v_or_b32_e32 v117, 40, v88
	v_add_nc_u32_e32 v119, 50, v88
	v_mad_u64_u32 v[90:91], null, s8, v110, 0
	v_mul_lo_u16 v44, v44, 5
	v_add_co_u32 v89, vcc_lo, s2, v84
	v_mad_u64_u32 v[92:93], null, s8, v111, 0
	v_sub_nc_u16 v44, v88, v44
	v_mad_u64_u32 v[94:95], null, s8, v112, 0
	v_add_co_ci_u32_e32 v84, vcc_lo, s3, v85, vcc_lo
	v_mul_lo_u16 v44, v44, 10
	v_add_nc_u32_e32 v116, 35, v88
	v_mad_u64_u32 v[96:97], null, s8, v113, 0
	v_mov_b32_e32 v85, v87
	v_and_b32_e32 v44, 0xfe, v44
	v_mad_u64_u32 v[98:99], null, s8, v114, 0
	v_add_nc_u32_e32 v118, 45, v88
	v_mad_u64_u32 v[100:101], null, s8, v115, 0
	v_lshlrev_b32_e32 v64, 4, v44
	v_mad_u64_u32 v[104:105], null, s8, v117, 0
	s_waitcnt lgkmcnt(0)
	s_clause 0x9
	global_load_dwordx4 v[48:51], v64, s[0:1] offset:64
	global_load_dwordx4 v[44:47], v64, s[0:1] offset:80
	;; [unrolled: 1-line block ×4, first 2 shown]
	global_load_dwordx4 v[60:63], v64, s[0:1]
	global_load_dwordx4 v[80:83], v64, s[0:1] offset:144
	global_load_dwordx4 v[76:79], v64, s[0:1] offset:32
	global_load_dwordx4 v[72:75], v64, s[0:1] offset:112
	global_load_dwordx4 v[68:71], v64, s[0:1] offset:16
	global_load_dwordx4 v[64:67], v64, s[0:1] offset:128
	v_mad_u64_u32 v[108:109], null, s8, v119, 0
	v_mad_u64_u32 v[102:103], null, s8, v116, 0
	;; [unrolled: 1-line block ×3, first 2 shown]
	v_mov_b32_e32 v85, v91
	v_mov_b32_e32 v88, v93
	v_mad_u64_u32 v[106:107], null, s8, v118, 0
	v_mov_b32_e32 v91, v95
	v_mov_b32_e32 v93, v97
	;; [unrolled: 1-line block ×6, first 2 shown]
	v_mad_u64_u32 v[109:110], null, s9, v110, v[85:86]
	v_mad_u64_u32 v[110:111], null, s9, v111, v[88:89]
	;; [unrolled: 1-line block ×3, first 2 shown]
	v_mov_b32_e32 v99, v103
	v_mad_u64_u32 v[112:113], null, s9, v113, v[93:94]
	v_mad_u64_u32 v[113:114], null, s9, v114, v[95:96]
	v_mov_b32_e32 v103, v107
	v_mad_u64_u32 v[114:115], null, s9, v115, v[97:98]
	v_mad_u64_u32 v[115:116], null, s9, v116, v[99:100]
	;; [unrolled: 1-line block ×5, first 2 shown]
	v_mov_b32_e32 v91, v109
	v_mov_b32_e32 v93, v110
	;; [unrolled: 1-line block ×5, first 2 shown]
	v_lshlrev_b64 v[85:86], 4, v[86:87]
	v_mov_b32_e32 v101, v114
	v_mov_b32_e32 v103, v115
	v_lshlrev_b64 v[87:88], 4, v[90:91]
	v_lshlrev_b64 v[90:91], 4, v[92:93]
	v_lshlrev_b64 v[92:93], 4, v[94:95]
	v_lshlrev_b64 v[94:95], 4, v[96:97]
	v_lshlrev_b64 v[96:97], 4, v[98:99]
	v_mov_b32_e32 v105, v116
	v_mov_b32_e32 v107, v117
	;; [unrolled: 1-line block ×3, first 2 shown]
	v_add_co_u32 v85, vcc_lo, v89, v85
	v_add_co_ci_u32_e32 v86, vcc_lo, v84, v86, vcc_lo
	v_add_co_u32 v87, vcc_lo, v89, v87
	v_add_co_ci_u32_e32 v88, vcc_lo, v84, v88, vcc_lo
	;; [unrolled: 2-line block ×3, first 2 shown]
	v_lshlrev_b64 v[100:101], 4, v[100:101]
	v_lshlrev_b64 v[102:103], 4, v[102:103]
	s_mov_b32 s11, 0x3fed1bb4
	s_mov_b32 s10, 0x8eee2c13
	;; [unrolled: 1-line block ×26, first 2 shown]
	s_waitcnt vmcnt(9)
	v_mul_f64 v[98:99], v[26:27], v[50:51]
	v_mul_f64 v[50:51], v[24:25], v[50:51]
	s_waitcnt vmcnt(8)
	v_mul_f64 v[110:111], v[30:31], v[46:47]
	v_mul_f64 v[46:47], v[28:29], v[46:47]
	s_waitcnt vmcnt(7)
	v_mul_f64 v[112:113], v[18:19], v[54:55]
	v_mul_f64 v[54:55], v[16:17], v[54:55]
	s_waitcnt vmcnt(6)
	v_mul_f64 v[114:115], v[38:39], v[58:59]
	v_mul_f64 v[58:59], v[36:37], v[58:59]
	s_waitcnt vmcnt(3)
	v_mul_f64 v[120:121], v[14:15], v[78:79]
	s_waitcnt vmcnt(2)
	v_mul_f64 v[122:123], v[34:35], v[74:75]
	v_mul_f64 v[78:79], v[12:13], v[78:79]
	;; [unrolled: 1-line block ×7, first 2 shown]
	v_fma_f64 v[24:25], v[24:25], v[48:49], v[98:99]
	v_fma_f64 v[26:27], v[26:27], v[48:49], -v[50:51]
	v_fma_f64 v[28:29], v[28:29], v[44:45], v[110:111]
	v_fma_f64 v[30:31], v[30:31], v[44:45], -v[46:47]
	v_fma_f64 v[16:17], v[16:17], v[52:53], v[112:113]
	v_fma_f64 v[18:19], v[18:19], v[52:53], -v[54:55]
	v_fma_f64 v[36:37], v[36:37], v[56:57], v[114:115]
	v_fma_f64 v[38:39], v[38:39], v[56:57], -v[58:59]
	v_fma_f64 v[12:13], v[12:13], v[76:77], v[120:121]
	v_fma_f64 v[32:33], v[32:33], v[72:73], v[122:123]
	v_fma_f64 v[14:15], v[14:15], v[76:77], -v[78:79]
	v_fma_f64 v[34:35], v[34:35], v[72:73], -v[74:75]
	v_fma_f64 v[8:9], v[8:9], v[60:61], v[116:117]
	v_fma_f64 v[40:41], v[40:41], v[80:81], v[118:119]
	v_fma_f64 v[10:11], v[10:11], v[60:61], -v[62:63]
	v_fma_f64 v[42:43], v[42:43], v[80:81], -v[82:83]
	s_waitcnt vmcnt(1)
	v_mul_f64 v[48:49], v[6:7], v[70:71]
	v_mul_f64 v[50:51], v[4:5], v[70:71]
	s_waitcnt vmcnt(0)
	v_mul_f64 v[52:53], v[22:23], v[66:67]
	v_add_co_u32 v44, vcc_lo, v89, v92
	v_add_co_ci_u32_e32 v45, vcc_lo, v84, v93, vcc_lo
	v_add_co_u32 v46, vcc_lo, v89, v94
	v_add_f64 v[62:63], v[24:25], -v[28:29]
	v_add_f64 v[74:75], v[26:27], -v[30:31]
	v_add_co_ci_u32_e32 v47, vcc_lo, v84, v95, vcc_lo
	v_add_f64 v[58:59], v[16:17], -v[36:37]
	v_add_f64 v[70:71], v[18:19], -v[38:39]
	;; [unrolled: 1-line block ×3, first 2 shown]
	v_add_co_u32 v54, vcc_lo, v89, v96
	v_add_f64 v[78:79], v[14:15], -v[34:35]
	v_add_f64 v[56:57], v[8:9], -v[40:41]
	v_add_co_ci_u32_e32 v55, vcc_lo, v84, v97, vcc_lo
	v_add_f64 v[60:61], v[10:11], -v[42:43]
	v_add_co_u32 v76, vcc_lo, v89, v100
	v_add_co_ci_u32_e32 v77, vcc_lo, v84, v101, vcc_lo
	v_add_co_u32 v80, vcc_lo, v89, v102
	v_add_co_ci_u32_e32 v81, vcc_lo, v84, v103, vcc_lo
	v_fma_f64 v[4:5], v[4:5], v[68:69], v[48:49]
	v_fma_f64 v[6:7], v[6:7], v[68:69], -v[50:51]
	v_mul_f64 v[96:97], v[62:63], s[10:11]
	v_mul_f64 v[102:103], v[74:75], s[10:11]
	;; [unrolled: 1-line block ×6, first 2 shown]
	v_fma_f64 v[20:21], v[20:21], v[64:65], v[52:53]
	v_mul_f64 v[116:117], v[78:79], s[10:11]
	s_mov_b32 s11, 0xbfed1bb4
	v_add_f64 v[48:49], v[10:11], v[42:43]
	v_add_f64 v[50:51], v[8:9], v[40:41]
	v_mul_f64 v[52:53], v[56:57], s[6:7]
	v_mul_f64 v[82:83], v[60:61], s[6:7]
	;; [unrolled: 1-line block ×9, first 2 shown]
	v_add_f64 v[10:11], v[2:3], v[10:11]
	v_mul_f64 v[60:61], v[60:61], s[10:11]
	v_add_f64 v[8:9], v[0:1], v[8:9]
	v_mul_f64 v[138:139], v[58:59], s[22:23]
	v_mul_f64 v[146:147], v[72:73], s[22:23]
	;; [unrolled: 1-line block ×4, first 2 shown]
	v_fma_f64 v[22:23], v[22:23], v[64:65], -v[66:67]
	v_add_f64 v[64:65], v[18:19], v[38:39]
	v_mul_f64 v[66:67], v[58:59], s[6:7]
	v_mul_f64 v[162:163], v[78:79], s[8:9]
	;; [unrolled: 1-line block ×4, first 2 shown]
	v_fma_f64 v[120:121], v[48:49], s[14:15], v[52:53]
	v_fma_f64 v[52:53], v[48:49], s[14:15], -v[52:53]
	v_fma_f64 v[122:123], v[50:51], s[14:15], -v[82:83]
	v_fma_f64 v[124:125], v[48:49], s[16:17], v[92:93]
	v_fma_f64 v[82:83], v[50:51], s[14:15], v[82:83]
	v_fma_f64 v[92:93], v[48:49], s[16:17], -v[92:93]
	v_fma_f64 v[126:127], v[50:51], s[16:17], -v[98:99]
	v_fma_f64 v[128:129], v[48:49], s[20:21], v[100:101]
	;; [unrolled: 4-line block ×5, first 2 shown]
	v_mul_f64 v[60:61], v[58:59], s[24:25]
	v_mul_f64 v[58:59], v[58:59], s[4:5]
	v_add_f64 v[10:11], v[6:7], v[10:11]
	v_add_f64 v[120:121], v[2:3], v[120:121]
	;; [unrolled: 1-line block ×21, first 2 shown]
	v_fma_f64 v[48:49], v[64:65], s[18:19], v[68:69]
	v_fma_f64 v[50:51], v[64:65], s[18:19], -v[68:69]
	v_fma_f64 v[68:69], v[64:65], s[14:15], v[66:67]
	v_fma_f64 v[66:67], v[64:65], s[14:15], -v[66:67]
	v_fma_f64 v[140:141], v[64:65], s[12:13], v[138:139]
	v_fma_f64 v[138:139], v[64:65], s[12:13], -v[138:139]
	v_fma_f64 v[142:143], v[64:65], s[20:21], v[60:61]
	v_fma_f64 v[60:61], v[64:65], s[20:21], -v[60:61]
	v_fma_f64 v[144:145], v[64:65], s[16:17], v[58:59]
	v_fma_f64 v[58:59], v[64:65], s[16:17], -v[58:59]
	v_add_f64 v[10:11], v[14:15], v[10:11]
	v_add_f64 v[14:15], v[14:15], v[34:35]
	v_mul_f64 v[64:65], v[72:73], s[4:5]
	v_mul_f64 v[72:73], v[72:73], s[0:1]
	v_add_f64 v[8:9], v[4:5], v[8:9]
	v_add_f64 v[178:179], v[16:17], v[36:37]
	v_mul_f64 v[190:191], v[62:63], s[4:5]
	v_mul_f64 v[192:193], v[62:63], s[2:3]
	v_add_f64 v[194:195], v[26:27], v[30:31]
	v_add_f64 v[212:213], v[6:7], v[22:23]
	v_add_f64 v[6:7], v[6:7], -v[22:23]
	v_add_f64 v[10:11], v[18:19], v[10:11]
	v_fma_f64 v[152:153], v[14:15], s[12:13], v[146:147]
	v_fma_f64 v[150:151], v[14:15], s[16:17], v[64:65]
	v_fma_f64 v[64:65], v[14:15], s[16:17], -v[64:65]
	v_fma_f64 v[146:147], v[14:15], s[12:13], -v[146:147]
	v_fma_f64 v[154:155], v[14:15], s[18:19], v[110:111]
	v_fma_f64 v[110:111], v[14:15], s[18:19], -v[110:111]
	v_fma_f64 v[156:157], v[14:15], s[14:15], v[148:149]
	;; [unrolled: 2-line block ×3, first 2 shown]
	v_fma_f64 v[14:15], v[14:15], s[20:21], -v[72:73]
	v_add_f64 v[8:9], v[12:13], v[8:9]
	v_add_f64 v[12:13], v[12:13], v[32:33]
	v_mul_f64 v[72:73], v[78:79], s[4:5]
	v_mul_f64 v[78:79], v[78:79], s[0:1]
	v_fma_f64 v[180:181], v[178:179], s[18:19], -v[94:95]
	v_fma_f64 v[94:95], v[178:179], s[18:19], v[94:95]
	v_fma_f64 v[184:185], v[178:179], s[12:13], -v[174:175]
	v_fma_f64 v[174:175], v[178:179], s[12:13], v[174:175]
	;; [unrolled: 2-line block ×3, first 2 shown]
	v_add_f64 v[18:19], v[4:5], -v[20:21]
	v_fma_f64 v[198:199], v[194:195], s[18:19], v[96:97]
	v_fma_f64 v[96:97], v[194:195], s[18:19], -v[96:97]
	v_fma_f64 v[200:201], v[194:195], s[16:17], v[190:191]
	v_fma_f64 v[190:191], v[194:195], s[16:17], -v[190:191]
	;; [unrolled: 2-line block ×3, first 2 shown]
	v_add_f64 v[10:11], v[26:27], v[10:11]
	v_add_f64 v[4:5], v[4:5], v[20:21]
	v_mul_f64 v[26:27], v[6:7], s[24:25]
	v_mul_f64 v[224:225], v[6:7], s[4:5]
	v_add_f64 v[8:9], v[16:17], v[8:9]
	v_fma_f64 v[166:167], v[12:13], s[12:13], -v[160:161]
	v_fma_f64 v[164:165], v[12:13], s[16:17], -v[72:73]
	v_fma_f64 v[72:73], v[12:13], s[16:17], v[72:73]
	v_fma_f64 v[160:161], v[12:13], s[12:13], v[160:161]
	v_fma_f64 v[168:169], v[12:13], s[18:19], -v[116:117]
	v_fma_f64 v[116:117], v[12:13], s[18:19], v[116:117]
	v_fma_f64 v[170:171], v[12:13], s[14:15], -v[162:163]
	;; [unrolled: 2-line block ×3, first 2 shown]
	v_fma_f64 v[12:13], v[12:13], s[20:21], v[78:79]
	v_mul_f64 v[78:79], v[70:71], s[6:7]
	v_mul_f64 v[70:71], v[70:71], s[4:5]
	;; [unrolled: 1-line block ×6, first 2 shown]
	v_fma_f64 v[228:229], v[4:5], s[20:21], -v[26:27]
	v_fma_f64 v[26:27], v[4:5], s[20:21], v[26:27]
	v_fma_f64 v[232:233], v[4:5], s[16:17], -v[224:225]
	v_add_f64 v[8:9], v[24:25], v[8:9]
	v_fma_f64 v[224:225], v[4:5], s[16:17], v[224:225]
	v_fma_f64 v[182:183], v[178:179], s[14:15], -v[78:79]
	v_fma_f64 v[78:79], v[178:179], s[14:15], v[78:79]
	v_fma_f64 v[188:189], v[178:179], s[16:17], -v[70:71]
	v_fma_f64 v[70:71], v[178:179], s[16:17], v[70:71]
	v_mul_f64 v[178:179], v[62:63], s[0:1]
	v_mul_f64 v[62:63], v[62:63], s[6:7]
	v_fma_f64 v[216:217], v[212:213], s[20:21], v[206:207]
	v_fma_f64 v[206:207], v[212:213], s[20:21], -v[206:207]
	v_fma_f64 v[218:219], v[212:213], s[14:15], v[208:209]
	v_fma_f64 v[208:209], v[212:213], s[14:15], -v[208:209]
	;; [unrolled: 2-line block ×3, first 2 shown]
	v_fma_f64 v[226:227], v[4:5], s[12:13], -v[16:17]
	v_fma_f64 v[16:17], v[4:5], s[12:13], v[16:17]
	v_add_f64 v[8:9], v[28:29], v[8:9]
	v_add_f64 v[26:27], v[26:27], v[98:99]
	;; [unrolled: 1-line block ×4, first 2 shown]
	v_fma_f64 v[196:197], v[194:195], s[20:21], v[178:179]
	v_fma_f64 v[178:179], v[194:195], s[20:21], -v[178:179]
	v_fma_f64 v[204:205], v[194:195], s[14:15], v[62:63]
	v_fma_f64 v[62:63], v[194:195], s[14:15], -v[62:63]
	v_mul_f64 v[194:195], v[18:19], s[2:3]
	v_mul_f64 v[18:19], v[18:19], s[10:11]
	v_add_f64 v[92:93], v[206:207], v[92:93]
	v_add_f64 v[2:3], v[210:211], v[2:3]
	;; [unrolled: 1-line block ×9, first 2 shown]
	v_fma_f64 v[214:215], v[212:213], s[12:13], v[194:195]
	v_fma_f64 v[194:195], v[212:213], s[12:13], -v[194:195]
	v_fma_f64 v[222:223], v[212:213], s[18:19], v[18:19]
	v_fma_f64 v[18:19], v[212:213], s[18:19], -v[18:19]
	v_mul_f64 v[212:213], v[6:7], s[8:9]
	v_mul_f64 v[6:7], v[6:7], s[10:11]
	v_add_f64 v[16:17], v[72:73], v[16:17]
	v_add_f64 v[8:9], v[32:33], v[8:9]
	;; [unrolled: 1-line block ×9, first 2 shown]
	v_fma_f64 v[230:231], v[4:5], s[14:15], -v[212:213]
	v_fma_f64 v[212:213], v[4:5], s[14:15], v[212:213]
	v_fma_f64 v[234:235], v[4:5], s[18:19], -v[6:7]
	v_fma_f64 v[4:5], v[4:5], s[18:19], v[6:7]
	v_add_f64 v[6:7], v[30:31], v[10:11]
	v_add_f64 v[10:11], v[24:25], v[28:29]
	v_mul_f64 v[24:25], v[74:75], s[0:1]
	v_mul_f64 v[28:29], v[74:75], s[4:5]
	;; [unrolled: 1-line block ×4, first 2 shown]
	v_add_f64 v[114:115], v[220:221], v[136:137]
	v_add_f64 v[16:17], v[94:95], v[16:17]
	;; [unrolled: 1-line block ×11, first 2 shown]
	v_fma_f64 v[238:239], v[10:11], s[18:19], -v[102:103]
	v_fma_f64 v[236:237], v[10:11], s[20:21], -v[24:25]
	v_fma_f64 v[24:25], v[10:11], s[20:21], v[24:25]
	v_fma_f64 v[102:103], v[10:11], s[18:19], v[102:103]
	v_fma_f64 v[240:241], v[10:11], s[16:17], -v[28:29]
	v_fma_f64 v[242:243], v[10:11], s[16:17], v[28:29]
	v_fma_f64 v[244:245], v[10:11], s[14:15], -v[30:31]
	;; [unrolled: 2-line block ×3, first 2 shown]
	v_fma_f64 v[74:75], v[10:11], s[12:13], v[74:75]
	v_add_f64 v[10:11], v[214:215], v[120:121]
	v_add_f64 v[120:121], v[228:229], v[126:127]
	;; [unrolled: 1-line block ×16, first 2 shown]
	v_lshlrev_b64 v[52:53], 4, v[104:105]
	v_lshlrev_b64 v[56:57], 4, v[106:107]
	v_add_f64 v[10:11], v[150:151], v[10:11]
	v_add_f64 v[72:73], v[166:167], v[120:121]
	v_add_f64 v[30:31], v[164:165], v[30:31]
	v_add_f64 v[98:99], v[168:169], v[122:123]
	v_add_f64 v[18:19], v[172:173], v[38:39]
	v_add_f64 v[38:39], v[68:69], v[64:65]
	v_add_f64 v[104:105], v[142:143], v[32:33]
	v_lshlrev_b64 v[64:65], 4, v[108:109]
	v_add_f64 v[82:83], v[174:175], v[110:111]
	v_add_f64 v[68:69], v[70:71], v[4:5]
	v_add_f64 v[70:71], v[22:23], v[6:7]
	v_add_f64 v[106:107], v[186:187], v[34:35]
	v_add_f64 v[4:5], v[24:25], v[16:17]
	v_add_f64 v[22:23], v[62:63], v[58:59]
	v_add_f64 v[14:15], v[96:97], v[50:51]
	v_add_f64 v[6:7], v[178:179], v[36:37]
	v_add_f64 v[34:35], v[200:201], v[92:93]
	v_add_f64 v[10:11], v[48:49], v[10:11]
	v_add_f64 v[48:49], v[182:183], v[72:73]
	v_add_f64 v[72:73], v[20:21], v[8:9]
	v_add_f64 v[30:31], v[180:181], v[30:31]
	v_add_f64 v[94:95], v[184:185], v[98:99]
	v_add_f64 v[98:99], v[144:145], v[12:13]
	v_add_f64 v[100:101], v[188:189], v[18:19]
	v_add_f64 v[12:13], v[102:103], v[26:27]
	v_add_f64 v[18:19], v[190:191], v[66:67]
	v_add_f64 v[16:17], v[242:243], v[82:83]
	v_add_f64 v[20:21], v[28:29], v[68:69]
	v_add_f64 v[26:27], v[42:43], v[70:71]
	v_add_f64 v[28:29], v[74:75], v[78:79]
	v_add_f64 v[42:43], v[202:203], v[104:105]
	v_add_f64 v[2:3], v[196:197], v[10:11]
	v_add_f64 v[10:11], v[198:199], v[38:39]
	v_add_f64 v[24:25], v[40:41], v[72:73]
	v_add_f64 v[0:1], v[236:237], v[30:31]
	v_add_f64 v[30:31], v[192:193], v[60:61]
	v_add_f64 v[8:9], v[238:239], v[48:49]
	v_add_f64 v[32:33], v[240:241], v[94:95]
	v_add_f64 v[40:41], v[246:247], v[106:107]
	v_add_f64 v[38:39], v[204:205], v[98:99]
	v_add_f64 v[36:37], v[244:245], v[100:101]
	v_add_co_u32 v48, vcc_lo, v89, v52
	v_add_co_ci_u32_e32 v49, vcc_lo, v84, v53, vcc_lo
	v_add_co_u32 v50, vcc_lo, v89, v56
	v_add_co_ci_u32_e32 v51, vcc_lo, v84, v57, vcc_lo
	;; [unrolled: 2-line block ×3, first 2 shown]
	global_store_dwordx4 v[85:86], v[24:27], off
	global_store_dwordx4 v[87:88], v[20:23], off
	;; [unrolled: 1-line block ×11, first 2 shown]
	s_endpgm
	.section	.rodata,"a",@progbits
	.p2align	6, 0x0
	.amdhsa_kernel fft_rtc_back_len55_factors_5_11_wgs_55_tpt_11_dim1_dp_ip_CI_sbrr_dirReg
		.amdhsa_group_segment_fixed_size 0
		.amdhsa_private_segment_fixed_size 0
		.amdhsa_kernarg_size 80
		.amdhsa_user_sgpr_count 6
		.amdhsa_user_sgpr_private_segment_buffer 1
		.amdhsa_user_sgpr_dispatch_ptr 0
		.amdhsa_user_sgpr_queue_ptr 0
		.amdhsa_user_sgpr_kernarg_segment_ptr 1
		.amdhsa_user_sgpr_dispatch_id 0
		.amdhsa_user_sgpr_flat_scratch_init 0
		.amdhsa_user_sgpr_private_segment_size 0
		.amdhsa_wavefront_size32 1
		.amdhsa_uses_dynamic_stack 0
		.amdhsa_system_sgpr_private_segment_wavefront_offset 0
		.amdhsa_system_sgpr_workgroup_id_x 1
		.amdhsa_system_sgpr_workgroup_id_y 0
		.amdhsa_system_sgpr_workgroup_id_z 0
		.amdhsa_system_sgpr_workgroup_info 0
		.amdhsa_system_vgpr_workitem_id 0
		.amdhsa_next_free_vgpr 248
		.amdhsa_next_free_sgpr 26
		.amdhsa_reserve_vcc 1
		.amdhsa_reserve_flat_scratch 0
		.amdhsa_float_round_mode_32 0
		.amdhsa_float_round_mode_16_64 0
		.amdhsa_float_denorm_mode_32 3
		.amdhsa_float_denorm_mode_16_64 3
		.amdhsa_dx10_clamp 1
		.amdhsa_ieee_mode 1
		.amdhsa_fp16_overflow 0
		.amdhsa_workgroup_processor_mode 1
		.amdhsa_memory_ordered 1
		.amdhsa_forward_progress 0
		.amdhsa_shared_vgpr_count 0
		.amdhsa_exception_fp_ieee_invalid_op 0
		.amdhsa_exception_fp_denorm_src 0
		.amdhsa_exception_fp_ieee_div_zero 0
		.amdhsa_exception_fp_ieee_overflow 0
		.amdhsa_exception_fp_ieee_underflow 0
		.amdhsa_exception_fp_ieee_inexact 0
		.amdhsa_exception_int_div_zero 0
	.end_amdhsa_kernel
	.text
.Lfunc_end0:
	.size	fft_rtc_back_len55_factors_5_11_wgs_55_tpt_11_dim1_dp_ip_CI_sbrr_dirReg, .Lfunc_end0-fft_rtc_back_len55_factors_5_11_wgs_55_tpt_11_dim1_dp_ip_CI_sbrr_dirReg
                                        ; -- End function
	.section	.AMDGPU.csdata,"",@progbits
; Kernel info:
; codeLenInByte = 4896
; NumSgprs: 28
; NumVgprs: 248
; ScratchSize: 0
; MemoryBound: 1
; FloatMode: 240
; IeeeMode: 1
; LDSByteSize: 0 bytes/workgroup (compile time only)
; SGPRBlocks: 3
; VGPRBlocks: 30
; NumSGPRsForWavesPerEU: 28
; NumVGPRsForWavesPerEU: 248
; Occupancy: 4
; WaveLimiterHint : 1
; COMPUTE_PGM_RSRC2:SCRATCH_EN: 0
; COMPUTE_PGM_RSRC2:USER_SGPR: 6
; COMPUTE_PGM_RSRC2:TRAP_HANDLER: 0
; COMPUTE_PGM_RSRC2:TGID_X_EN: 1
; COMPUTE_PGM_RSRC2:TGID_Y_EN: 0
; COMPUTE_PGM_RSRC2:TGID_Z_EN: 0
; COMPUTE_PGM_RSRC2:TIDIG_COMP_CNT: 0
	.text
	.p2alignl 6, 3214868480
	.fill 48, 4, 3214868480
	.type	__hip_cuid_7cb35c4b27f0a8f4,@object ; @__hip_cuid_7cb35c4b27f0a8f4
	.section	.bss,"aw",@nobits
	.globl	__hip_cuid_7cb35c4b27f0a8f4
__hip_cuid_7cb35c4b27f0a8f4:
	.byte	0                               ; 0x0
	.size	__hip_cuid_7cb35c4b27f0a8f4, 1

	.ident	"AMD clang version 19.0.0git (https://github.com/RadeonOpenCompute/llvm-project roc-6.4.0 25133 c7fe45cf4b819c5991fe208aaa96edf142730f1d)"
	.section	".note.GNU-stack","",@progbits
	.addrsig
	.addrsig_sym __hip_cuid_7cb35c4b27f0a8f4
	.amdgpu_metadata
---
amdhsa.kernels:
  - .args:
      - .actual_access:  read_only
        .address_space:  global
        .offset:         0
        .size:           8
        .value_kind:     global_buffer
      - .actual_access:  read_only
        .address_space:  global
        .offset:         8
        .size:           8
        .value_kind:     global_buffer
      - .actual_access:  read_only
        .address_space:  global
        .offset:         16
        .size:           8
        .value_kind:     global_buffer
      - .offset:         24
        .size:           8
        .value_kind:     by_value
      - .actual_access:  read_only
        .address_space:  global
        .offset:         32
        .size:           8
        .value_kind:     global_buffer
      - .actual_access:  read_only
        .address_space:  global
        .offset:         40
        .size:           8
        .value_kind:     global_buffer
      - .offset:         48
        .size:           4
        .value_kind:     by_value
      - .actual_access:  read_only
        .address_space:  global
        .offset:         56
        .size:           8
        .value_kind:     global_buffer
      - .actual_access:  read_only
        .address_space:  global
        .offset:         64
        .size:           8
        .value_kind:     global_buffer
      - .address_space:  global
        .offset:         72
        .size:           8
        .value_kind:     global_buffer
    .group_segment_fixed_size: 0
    .kernarg_segment_align: 8
    .kernarg_segment_size: 80
    .language:       OpenCL C
    .language_version:
      - 2
      - 0
    .max_flat_workgroup_size: 55
    .name:           fft_rtc_back_len55_factors_5_11_wgs_55_tpt_11_dim1_dp_ip_CI_sbrr_dirReg
    .private_segment_fixed_size: 0
    .sgpr_count:     28
    .sgpr_spill_count: 0
    .symbol:         fft_rtc_back_len55_factors_5_11_wgs_55_tpt_11_dim1_dp_ip_CI_sbrr_dirReg.kd
    .uniform_work_group_size: 1
    .uses_dynamic_stack: false
    .vgpr_count:     248
    .vgpr_spill_count: 0
    .wavefront_size: 32
    .workgroup_processor_mode: 1
amdhsa.target:   amdgcn-amd-amdhsa--gfx1030
amdhsa.version:
  - 1
  - 2
...

	.end_amdgpu_metadata
